;; amdgpu-corpus repo=ROCm/rocm-examples kind=compiled arch=gfx906 opt=O3
	.amdgcn_target "amdgcn-amd-amdhsa--gfx906"
	.amdhsa_code_object_version 6
	.text
	.protected	_Z16weighting_kernelPfm15HIP_vector_typeIjLj2EEffS0_IfLj2EES2_ ; -- Begin function _Z16weighting_kernelPfm15HIP_vector_typeIjLj2EEffS0_IfLj2EES2_
	.globl	_Z16weighting_kernelPfm15HIP_vector_typeIjLj2EEffS0_IfLj2EES2_
	.p2align	8
	.type	_Z16weighting_kernelPfm15HIP_vector_typeIjLj2EEffS0_IfLj2EES2_,@function
_Z16weighting_kernelPfm15HIP_vector_typeIjLj2EEffS0_IfLj2EES2_: ; @_Z16weighting_kernelPfm15HIP_vector_typeIjLj2EEffS0_IfLj2EES2_
; %bb.0:
	s_load_dword s8, s[4:5], 0x3c
	s_load_dwordx4 s[0:3], s[4:5], 0x10
	s_waitcnt lgkmcnt(0)
	s_lshr_b32 s9, s8, 16
	s_and_b32 s8, s8, 0xffff
	s_mul_i32 s6, s6, s8
	s_mul_i32 s7, s7, s9
	v_add_u32_e32 v0, s6, v0
	v_add_u32_e32 v2, s7, v1
	v_cmp_gt_u32_e32 vcc, s0, v0
	v_cmp_gt_u32_e64 s[0:1], s1, v2
	s_and_b64 s[0:1], vcc, s[0:1]
	s_and_saveexec_b64 s[6:7], s[0:1]
	s_cbranch_execz .LBB0_2
; %bb.1:
	s_load_dwordx4 s[12:15], s[4:5], 0x0
	s_load_dwordx4 s[8:11], s[4:5], 0x20
	v_mov_b32_e32 v1, 0
	s_waitcnt lgkmcnt(0)
	v_mov_b32_e32 v3, s12
	v_mov_b32_e32 v4, s13
	v_mad_u64_u32 v[3:4], s[0:1], s14, v2, v[3:4]
	v_mad_u64_u32 v[4:5], s[0:1], s15, v2, v[4:5]
	v_lshlrev_b64 v[5:6], 2, v[0:1]
	v_cvt_f32_u32_e32 v0, v0
	v_add_co_u32_e32 v3, vcc, v3, v5
	v_addc_co_u32_e32 v4, vcc, v4, v6, vcc
	global_load_dword v1, v[3:4], off
	v_cvt_f32_u32_e32 v2, v2
	v_add_f32_e32 v0, 0.5, v0
	v_mov_b32_e32 v5, s8
	v_fma_f32 v0, s10, v0, v5
	v_add_f32_e32 v2, 0.5, v2
	v_mov_b32_e32 v5, s9
	v_mul_f32_e32 v0, v0, v0
	v_fma_f32 v2, s11, v2, v5
	v_fma_f32 v5, s2, s2, v0
	v_fmac_f32_e32 v5, v2, v2
	s_mov_b32 s0, 0x800000
	v_fmac_f32_e64 v0, s3, s3
	v_mul_f32_e32 v6, 0x4b800000, v5
	v_cmp_gt_f32_e32 vcc, s0, v5
	v_fmac_f32_e32 v0, v2, v2
	v_cndmask_b32_e32 v5, v5, v6, vcc
	v_mul_f32_e32 v2, 0x4b800000, v0
	v_cmp_gt_f32_e64 s[0:1], s0, v0
	v_rsq_f32_e32 v5, v5
	v_cndmask_b32_e64 v0, v0, v2, s[0:1]
	v_rsq_f32_e32 v0, v0
	v_mul_f32_e32 v2, 0x45800000, v5
	v_cndmask_b32_e32 v2, v5, v2, vcc
	v_mul_f32_e32 v5, 0x45800000, v0
	v_cndmask_b32_e64 v0, v0, v5, s[0:1]
	v_mul_f32_e32 v0, s3, v0
	v_mul_f32_e32 v2, s2, v2
	;; [unrolled: 1-line block ×3, first 2 shown]
	s_waitcnt vmcnt(0)
	v_mul_f32_e32 v0, v1, v0
	global_store_dword v[3:4], v0, off
.LBB0_2:
	s_endpgm
	.section	.rodata,"a",@progbits
	.p2align	6, 0x0
	.amdhsa_kernel _Z16weighting_kernelPfm15HIP_vector_typeIjLj2EEffS0_IfLj2EES2_
		.amdhsa_group_segment_fixed_size 0
		.amdhsa_private_segment_fixed_size 0
		.amdhsa_kernarg_size 304
		.amdhsa_user_sgpr_count 6
		.amdhsa_user_sgpr_private_segment_buffer 1
		.amdhsa_user_sgpr_dispatch_ptr 0
		.amdhsa_user_sgpr_queue_ptr 0
		.amdhsa_user_sgpr_kernarg_segment_ptr 1
		.amdhsa_user_sgpr_dispatch_id 0
		.amdhsa_user_sgpr_flat_scratch_init 0
		.amdhsa_user_sgpr_private_segment_size 0
		.amdhsa_uses_dynamic_stack 0
		.amdhsa_system_sgpr_private_segment_wavefront_offset 0
		.amdhsa_system_sgpr_workgroup_id_x 1
		.amdhsa_system_sgpr_workgroup_id_y 1
		.amdhsa_system_sgpr_workgroup_id_z 0
		.amdhsa_system_sgpr_workgroup_info 0
		.amdhsa_system_vgpr_workitem_id 1
		.amdhsa_next_free_vgpr 7
		.amdhsa_next_free_sgpr 16
		.amdhsa_reserve_vcc 1
		.amdhsa_reserve_flat_scratch 0
		.amdhsa_float_round_mode_32 0
		.amdhsa_float_round_mode_16_64 0
		.amdhsa_float_denorm_mode_32 3
		.amdhsa_float_denorm_mode_16_64 3
		.amdhsa_dx10_clamp 1
		.amdhsa_ieee_mode 1
		.amdhsa_fp16_overflow 0
		.amdhsa_exception_fp_ieee_invalid_op 0
		.amdhsa_exception_fp_denorm_src 0
		.amdhsa_exception_fp_ieee_div_zero 0
		.amdhsa_exception_fp_ieee_overflow 0
		.amdhsa_exception_fp_ieee_underflow 0
		.amdhsa_exception_fp_ieee_inexact 0
		.amdhsa_exception_int_div_zero 0
	.end_amdhsa_kernel
	.text
.Lfunc_end0:
	.size	_Z16weighting_kernelPfm15HIP_vector_typeIjLj2EEffS0_IfLj2EES2_, .Lfunc_end0-_Z16weighting_kernelPfm15HIP_vector_typeIjLj2EEffS0_IfLj2EES2_
                                        ; -- End function
	.set _Z16weighting_kernelPfm15HIP_vector_typeIjLj2EEffS0_IfLj2EES2_.num_vgpr, 7
	.set _Z16weighting_kernelPfm15HIP_vector_typeIjLj2EEffS0_IfLj2EES2_.num_agpr, 0
	.set _Z16weighting_kernelPfm15HIP_vector_typeIjLj2EEffS0_IfLj2EES2_.numbered_sgpr, 16
	.set _Z16weighting_kernelPfm15HIP_vector_typeIjLj2EEffS0_IfLj2EES2_.num_named_barrier, 0
	.set _Z16weighting_kernelPfm15HIP_vector_typeIjLj2EEffS0_IfLj2EES2_.private_seg_size, 0
	.set _Z16weighting_kernelPfm15HIP_vector_typeIjLj2EEffS0_IfLj2EES2_.uses_vcc, 1
	.set _Z16weighting_kernelPfm15HIP_vector_typeIjLj2EEffS0_IfLj2EES2_.uses_flat_scratch, 0
	.set _Z16weighting_kernelPfm15HIP_vector_typeIjLj2EEffS0_IfLj2EES2_.has_dyn_sized_stack, 0
	.set _Z16weighting_kernelPfm15HIP_vector_typeIjLj2EEffS0_IfLj2EES2_.has_recursion, 0
	.set _Z16weighting_kernelPfm15HIP_vector_typeIjLj2EEffS0_IfLj2EES2_.has_indirect_call, 0
	.section	.AMDGPU.csdata,"",@progbits
; Kernel info:
; codeLenInByte = 328
; TotalNumSgprs: 20
; NumVgprs: 7
; ScratchSize: 0
; MemoryBound: 0
; FloatMode: 240
; IeeeMode: 1
; LDSByteSize: 0 bytes/workgroup (compile time only)
; SGPRBlocks: 2
; VGPRBlocks: 1
; NumSGPRsForWavesPerEU: 20
; NumVGPRsForWavesPerEU: 7
; Occupancy: 10
; WaveLimiterHint : 0
; COMPUTE_PGM_RSRC2:SCRATCH_EN: 0
; COMPUTE_PGM_RSRC2:USER_SGPR: 6
; COMPUTE_PGM_RSRC2:TRAP_HANDLER: 0
; COMPUTE_PGM_RSRC2:TGID_X_EN: 1
; COMPUTE_PGM_RSRC2:TGID_Y_EN: 1
; COMPUTE_PGM_RSRC2:TGID_Z_EN: 0
; COMPUTE_PGM_RSRC2:TIDIG_COMP_CNT: 1
	.section	.AMDGPU.gpr_maximums,"",@progbits
	.set amdgpu.max_num_vgpr, 0
	.set amdgpu.max_num_agpr, 0
	.set amdgpu.max_num_sgpr, 0
	.section	.AMDGPU.csdata,"",@progbits
	.type	__hip_cuid_d4140c3324b14fed,@object ; @__hip_cuid_d4140c3324b14fed
	.section	.bss,"aw",@nobits
	.globl	__hip_cuid_d4140c3324b14fed
__hip_cuid_d4140c3324b14fed:
	.byte	0                               ; 0x0
	.size	__hip_cuid_d4140c3324b14fed, 1

	.ident	"AMD clang version 22.0.0git (https://github.com/RadeonOpenCompute/llvm-project roc-7.2.4 26084 f58b06dce1f9c15707c5f808fd002e18c2accf7e)"
	.section	".note.GNU-stack","",@progbits
	.addrsig
	.addrsig_sym __hip_cuid_d4140c3324b14fed
	.amdgpu_metadata
---
amdhsa.kernels:
  - .args:
      - .address_space:  global
        .offset:         0
        .size:           8
        .value_kind:     global_buffer
      - .offset:         8
        .size:           8
        .value_kind:     by_value
      - .offset:         16
        .size:           8
        .value_kind:     by_value
      - .offset:         24
        .size:           4
        .value_kind:     by_value
      - .offset:         28
        .size:           4
        .value_kind:     by_value
      - .offset:         32
        .size:           8
        .value_kind:     by_value
      - .offset:         40
        .size:           8
        .value_kind:     by_value
      - .offset:         48
        .size:           4
        .value_kind:     hidden_block_count_x
      - .offset:         52
        .size:           4
        .value_kind:     hidden_block_count_y
      - .offset:         56
        .size:           4
        .value_kind:     hidden_block_count_z
      - .offset:         60
        .size:           2
        .value_kind:     hidden_group_size_x
      - .offset:         62
        .size:           2
        .value_kind:     hidden_group_size_y
      - .offset:         64
        .size:           2
        .value_kind:     hidden_group_size_z
      - .offset:         66
        .size:           2
        .value_kind:     hidden_remainder_x
      - .offset:         68
        .size:           2
        .value_kind:     hidden_remainder_y
      - .offset:         70
        .size:           2
        .value_kind:     hidden_remainder_z
      - .offset:         88
        .size:           8
        .value_kind:     hidden_global_offset_x
      - .offset:         96
        .size:           8
        .value_kind:     hidden_global_offset_y
      - .offset:         104
        .size:           8
        .value_kind:     hidden_global_offset_z
      - .offset:         112
        .size:           2
        .value_kind:     hidden_grid_dims
    .group_segment_fixed_size: 0
    .kernarg_segment_align: 8
    .kernarg_segment_size: 304
    .language:       OpenCL C
    .language_version:
      - 2
      - 0
    .max_flat_workgroup_size: 1024
    .name:           _Z16weighting_kernelPfm15HIP_vector_typeIjLj2EEffS0_IfLj2EES2_
    .private_segment_fixed_size: 0
    .sgpr_count:     20
    .sgpr_spill_count: 0
    .symbol:         _Z16weighting_kernelPfm15HIP_vector_typeIjLj2EEffS0_IfLj2EES2_.kd
    .uniform_work_group_size: 1
    .uses_dynamic_stack: false
    .vgpr_count:     7
    .vgpr_spill_count: 0
    .wavefront_size: 64
amdhsa.target:   amdgcn-amd-amdhsa--gfx906
amdhsa.version:
  - 1
  - 2
...

	.end_amdgpu_metadata
